;; amdgpu-corpus repo=zjin-lcf/HeCBench kind=compiled arch=gfx906 opt=O3
	.amdgcn_target "amdgcn-amd-amdhsa--gfx906"
	.amdhsa_code_object_version 6
	.text
	.protected	_Z14rainflow_countPKdPKiPdPiP15HIP_vector_typeIdLj3EES4_i ; -- Begin function _Z14rainflow_countPKdPKiPdPiP15HIP_vector_typeIdLj3EES4_i
	.globl	_Z14rainflow_countPKdPKiPdPiP15HIP_vector_typeIdLj3EES4_i
	.p2align	8
	.type	_Z14rainflow_countPKdPKiPdPiP15HIP_vector_typeIdLj3EES4_i,@function
_Z14rainflow_countPKdPKiPdPiP15HIP_vector_typeIdLj3EES4_i: ; @_Z14rainflow_countPKdPKiPdPiP15HIP_vector_typeIdLj3EES4_i
; %bb.0:
	s_load_dword s0, s[4:5], 0x44
	s_load_dword s1, s[4:5], 0x30
	s_waitcnt lgkmcnt(0)
	s_and_b32 s0, s0, 0xffff
	s_mul_i32 s6, s6, s0
	v_add_u32_e32 v0, s6, v0
	v_cmp_gt_i32_e32 vcc, s1, v0
	s_and_saveexec_b64 s[0:1], vcc
	s_cbranch_execz .LBB0_32
; %bb.1:
	s_load_dwordx8 s[8:15], s[4:5], 0x0
	v_ashrrev_i32_e32 v1, 31, v0
	v_lshlrev_b64 v[4:5], 2, v[0:1]
	s_load_dwordx4 s[4:7], s[4:5], 0x20
	s_waitcnt lgkmcnt(0)
	v_mov_b32_e32 v1, s11
	v_add_co_u32_e32 v0, vcc, s10, v4
	v_addc_co_u32_e32 v1, vcc, v1, v5, vcc
	global_load_dwordx2 v[2:3], v[0:1], off
	v_mov_b32_e32 v1, s9
	v_mov_b32_e32 v7, s13
	s_waitcnt vmcnt(0)
	v_ashrrev_i32_e32 v9, 31, v2
	v_mov_b32_e32 v8, v2
	v_lshlrev_b64 v[10:11], 3, v[8:9]
	v_sub_u32_e32 v18, v3, v2
	v_add_co_u32_e32 v0, vcc, s8, v10
	v_addc_co_u32_e64 v1, s[0:1], v1, v11, vcc
	global_load_dwordx2 v[12:13], v[0:1], off
	v_add_co_u32_e64 v6, s[2:3], s12, v10
	v_cmp_lt_i32_e64 s[0:1], 2, v18
	v_addc_co_u32_e64 v7, s[2:3], v7, v11, s[2:3]
	v_mov_b32_e32 v10, 0
	s_waitcnt vmcnt(0)
	global_store_dwordx2 v[6:7], v[12:13], off
	s_and_saveexec_b64 s[2:3], s[0:1]
	s_cbranch_execz .LBB0_13
; %bb.2:
	v_sub_u32_e32 v2, v3, v8
	v_add_u32_e32 v19, -2, v2
	v_mov_b32_e32 v2, s9
	v_addc_co_u32_e32 v3, vcc, v2, v11, vcc
	v_add_co_u32_e32 v2, vcc, 16, v0
	v_addc_co_u32_e32 v3, vcc, 0, v3, vcc
	v_mov_b32_e32 v10, 0
	s_mov_b64 s[0:1], 0
	s_branch .LBB0_4
.LBB0_3:                                ;   in Loop: Header=BB0_4 Depth=1
	s_or_b64 exec, exec, s[10:11]
	v_add_u32_e32 v19, -1, v19
	v_cmp_eq_u32_e32 vcc, 0, v19
	s_or_b64 s[0:1], vcc, s[0:1]
	v_add_co_u32_e32 v2, vcc, 8, v2
	v_addc_co_u32_e32 v3, vcc, 0, v3, vcc
	s_andn2_b64 exec, exec, s[0:1]
	s_cbranch_execz .LBB0_12
.LBB0_4:                                ; =>This Inner Loop Header: Depth=1
	v_ashrrev_i32_e32 v11, 31, v10
	v_lshlrev_b64 v[14:15], 3, v[10:11]
	global_load_dwordx2 v[12:13], v[2:3], off offset:-8
	v_add_co_u32_e32 v14, vcc, v6, v14
	v_addc_co_u32_e32 v15, vcc, v7, v15, vcc
	global_load_dwordx2 v[16:17], v[14:15], off
	s_mov_b64 s[8:9], 0
	s_waitcnt vmcnt(0)
	v_cmp_ngt_f64_e64 s[12:13], v[12:13], v[16:17]
	v_cmp_gt_f64_e32 vcc, v[12:13], v[16:17]
	s_and_saveexec_b64 s[10:11], vcc
	s_cbranch_execnz .LBB0_7
; %bb.5:                                ;   in Loop: Header=BB0_4 Depth=1
	s_or_b64 exec, exec, s[10:11]
	s_and_saveexec_b64 s[10:11], s[12:13]
	s_cbranch_execnz .LBB0_8
.LBB0_6:                                ;   in Loop: Header=BB0_4 Depth=1
	s_or_b64 exec, exec, s[10:11]
	s_and_saveexec_b64 s[10:11], s[8:9]
	s_cbranch_execz .LBB0_3
	s_branch .LBB0_11
.LBB0_7:                                ;   in Loop: Header=BB0_4 Depth=1
	global_load_dwordx2 v[20:21], v[2:3], off
	s_andn2_b64 s[12:13], s[12:13], exec
	s_mov_b64 s[8:9], exec
	s_waitcnt vmcnt(0)
	v_cmp_ngt_f64_e32 vcc, v[12:13], v[20:21]
	s_and_b64 s[16:17], vcc, exec
	s_or_b64 s[12:13], s[12:13], s[16:17]
	s_or_b64 exec, exec, s[10:11]
	s_and_saveexec_b64 s[10:11], s[12:13]
	s_cbranch_execz .LBB0_6
.LBB0_8:                                ;   in Loop: Header=BB0_4 Depth=1
	v_cmp_lt_f64_e32 vcc, v[12:13], v[16:17]
	s_mov_b64 s[12:13], 0
	s_and_saveexec_b64 s[16:17], vcc
	s_cbranch_execz .LBB0_10
; %bb.9:                                ;   in Loop: Header=BB0_4 Depth=1
	global_load_dwordx2 v[16:17], v[2:3], off
	s_waitcnt vmcnt(0)
	v_cmp_lt_f64_e32 vcc, v[12:13], v[16:17]
	s_and_b64 s[12:13], vcc, exec
.LBB0_10:                               ;   in Loop: Header=BB0_4 Depth=1
	s_or_b64 exec, exec, s[16:17]
	s_andn2_b64 s[8:9], s[8:9], exec
	s_and_b64 s[12:13], s[12:13], exec
	s_or_b64 s[8:9], s[8:9], s[12:13]
	s_or_b64 exec, exec, s[10:11]
	s_and_saveexec_b64 s[10:11], s[8:9]
	s_cbranch_execz .LBB0_3
.LBB0_11:                               ;   in Loop: Header=BB0_4 Depth=1
	v_add_u32_e32 v10, 1, v10
	global_store_dwordx2 v[14:15], v[12:13], off offset:8
	s_branch .LBB0_3
.LBB0_12:
	s_or_b64 exec, exec, s[0:1]
.LBB0_13:
	s_or_b64 exec, exec, s[2:3]
	v_add_u32_e32 v2, -1, v18
	v_ashrrev_i32_e32 v3, 31, v2
	v_lshlrev_b64 v[2:3], 3, v[2:3]
	v_lshlrev_b64 v[13:14], 2, v[8:9]
	v_add_co_u32_e32 v0, vcc, v0, v2
	v_addc_co_u32_e32 v1, vcc, v1, v3, vcc
	global_load_dwordx2 v[0:1], v[0:1], off
	v_ashrrev_i32_e32 v11, 31, v10
	v_mov_b32_e32 v9, s15
	v_lshlrev_b64 v[2:3], 3, v[10:11]
	v_add_co_u32_e32 v15, vcc, s14, v13
	v_addc_co_u32_e64 v16, s[2:3], v9, v14, vcc
	v_add_co_u32_e64 v2, s[2:3], v6, v2
	v_mov_b32_e32 v12, -1
	v_cmp_lt_i32_e64 s[0:1], -2, v10
	v_addc_co_u32_e64 v3, s[2:3], v7, v3, s[2:3]
	v_mov_b32_e32 v11, -1
	s_waitcnt vmcnt(0)
	global_store_dwordx2 v[2:3], v[0:1], off offset:8
	s_and_saveexec_b64 s[2:3], s[0:1]
	s_cbranch_execz .LBB0_27
; %bb.14:
	v_mad_i64_i32 v[0:1], s[0:1], v8, 24, s[4:5]
	v_mov_b32_e32 v12, -1
	s_mov_b64 s[8:9], 0
	v_add_co_u32_e64 v17, s[0:1], 24, v0
	v_addc_co_u32_e64 v18, s[0:1], 0, v1, s[0:1]
	s_mov_b32 s14, -1
	v_mov_b32_e32 v13, 0
	v_mov_b32_e32 v11, v12
	s_branch .LBB0_17
.LBB0_15:                               ;   in Loop: Header=BB0_17 Depth=1
	s_or_b64 exec, exec, s[12:13]
.LBB0_16:                               ;   in Loop: Header=BB0_17 Depth=1
	s_or_b64 exec, exec, s[10:11]
	v_cmp_eq_u32_e64 s[0:1], s14, v10
	s_or_b64 s[8:9], s[0:1], s[8:9]
	s_mov_b32 s14, s20
	s_andn2_b64 exec, exec, s[8:9]
	s_cbranch_execz .LBB0_26
.LBB0_17:                               ; =>This Loop Header: Depth=1
                                        ;     Child Loop BB0_21 Depth 2
	v_mov_b32_e32 v0, v12
	v_ashrrev_i32_e32 v1, 31, v0
	v_lshlrev_b64 v[1:2], 2, v[0:1]
	s_add_i32 s20, s14, 1
	v_add_co_u32_e64 v1, s[0:1], v15, v1
	v_addc_co_u32_e64 v2, s[0:1], v16, v2, s[0:1]
	v_add_u32_e32 v12, 1, v0
	v_mov_b32_e32 v3, s20
	v_cmp_lt_i32_e64 s[0:1], 0, v0
	global_store_dword v[1:2], v3, off offset:4
	s_and_saveexec_b64 s[10:11], s[0:1]
	s_cbranch_execz .LBB0_16
; %bb.18:                               ;   in Loop: Header=BB0_17 Depth=1
	v_mad_i64_i32 v[19:20], s[0:1], v11, 24, v[17:18]
	s_mov_b64 s[12:13], 0
                                        ; implicit-def: $sgpr16_sgpr17
	s_branch .LBB0_21
.LBB0_19:                               ;   in Loop: Header=BB0_21 Depth=2
	s_or_b64 exec, exec, s[0:1]
	v_add_f64 v[22:23], v[24:25], v[26:27]
	v_cmp_gt_i32_e64 s[0:1], 2, v21
	v_and_b32_e32 v3, 0x7fffffff, v3
	s_andn2_b64 s[16:17], s[16:17], exec
	s_and_b64 s[0:1], s[0:1], exec
	global_store_dwordx4 v[19:20], v[0:3], off
	s_or_b64 s[16:17], s[16:17], s[0:1]
	v_add_u32_e32 v11, 1, v11
	v_mul_f64 v[22:23], v[22:23], 0.5
	v_mov_b32_e32 v12, v21
	global_store_dwordx2 v[19:20], v[22:23], off offset:16
	v_add_co_u32_e64 v19, s[0:1], 24, v19
	v_addc_co_u32_e64 v20, s[0:1], 0, v20, s[0:1]
.LBB0_20:                               ;   in Loop: Header=BB0_21 Depth=2
	s_or_b64 exec, exec, s[18:19]
	s_and_b64 s[0:1], exec, s[16:17]
	s_or_b64 s[12:13], s[0:1], s[12:13]
	s_andn2_b64 exec, exec, s[12:13]
	s_cbranch_execz .LBB0_15
.LBB0_21:                               ;   Parent Loop BB0_17 Depth=1
                                        ; =>  This Inner Loop Header: Depth=2
	v_lshlrev_b64 v[0:1], 2, v[12:13]
	v_add_u32_e32 v21, -2, v12
	v_add_co_u32_e64 v0, s[0:1], v15, v0
	v_addc_co_u32_e64 v1, s[0:1], v16, v1, s[0:1]
	v_mov_b32_e32 v22, v13
	global_load_dwordx2 v[0:1], v[0:1], off offset:-4
	v_lshlrev_b64 v[2:3], 2, v[21:22]
	s_or_b64 s[16:17], s[16:17], exec
	v_add_co_u32_e64 v22, s[0:1], v15, v2
	v_addc_co_u32_e64 v23, s[0:1], v16, v3, s[0:1]
	global_load_dword v2, v[22:23], off
	s_waitcnt vmcnt(1)
	v_ashrrev_i32_e32 v25, 31, v0
	v_mov_b32_e32 v24, v0
	v_lshlrev_b64 v[24:25], 3, v[24:25]
	v_ashrrev_i32_e32 v27, 31, v1
	v_mov_b32_e32 v26, v1
	v_lshlrev_b64 v[26:27], 3, v[26:27]
	v_add_co_u32_e64 v28, s[0:1], v6, v24
	s_waitcnt vmcnt(0)
	v_ashrrev_i32_e32 v3, 31, v2
	v_addc_co_u32_e64 v29, s[0:1], v7, v25, s[0:1]
	v_lshlrev_b64 v[2:3], 3, v[2:3]
	v_add_co_u32_e64 v30, s[0:1], v6, v26
	v_addc_co_u32_e64 v31, s[0:1], v7, v27, s[0:1]
	v_add_co_u32_e64 v2, s[0:1], v6, v2
	v_addc_co_u32_e64 v3, s[0:1], v7, v3, s[0:1]
	global_load_dwordx2 v[24:25], v[28:29], off
	global_load_dwordx2 v[32:33], v[30:31], off
	;; [unrolled: 1-line block ×3, first 2 shown]
	s_waitcnt vmcnt(1)
	v_add_f64 v[28:29], v[24:25], -v[32:33]
	s_waitcnt vmcnt(0)
	v_add_f64 v[2:3], v[26:27], -v[24:25]
	v_cmp_ge_f64_e64 s[0:1], |v[28:29]|, |v[2:3]|
	s_and_saveexec_b64 s[18:19], s[0:1]
	s_cbranch_execz .LBB0_20
; %bb.22:                               ;   in Loop: Header=BB0_21 Depth=2
	v_cmp_ne_u32_e64 s[0:1], 2, v12
	s_and_saveexec_b64 s[22:23], s[0:1]
	s_xor_b64 s[0:1], exec, s[22:23]
	s_cbranch_execz .LBB0_24
; %bb.23:                               ;   in Loop: Header=BB0_21 Depth=2
	global_store_dword v[22:23], v1, off
.LBB0_24:                               ;   in Loop: Header=BB0_21 Depth=2
	s_or_saveexec_b64 s[0:1], s[0:1]
	v_mov_b32_e32 v0, 0
	v_mov_b32_e32 v1, 0x3ff00000
	s_xor_b64 exec, exec, s[0:1]
	s_cbranch_execz .LBB0_19
; %bb.25:                               ;   in Loop: Header=BB0_21 Depth=2
	global_load_dwordx2 v[21:22], v[15:16], off offset:4
	v_mov_b32_e32 v0, 0
	v_mov_b32_e32 v1, 0x3fe00000
	s_waitcnt vmcnt(0)
	global_store_dwordx2 v[15:16], v[21:22], off
	v_mov_b32_e32 v21, 1
	s_branch .LBB0_19
.LBB0_26:
	s_or_b64 exec, exec, s[8:9]
.LBB0_27:
	s_or_b64 exec, exec, s[2:3]
	v_cmp_lt_i32_e64 s[0:1], 0, v12
	s_and_saveexec_b64 s[2:3], s[0:1]
	s_cbranch_execz .LBB0_31
; %bb.28:
	global_load_dword v0, v[15:16], off
	v_mov_b32_e32 v2, s5
	s_waitcnt vmcnt(0)
	v_ashrrev_i32_e32 v1, 31, v0
	v_lshlrev_b64 v[0:1], 3, v[0:1]
	v_add_co_u32_e64 v0, s[0:1], v6, v0
	v_addc_co_u32_e64 v1, s[0:1], v7, v1, s[0:1]
	global_load_dwordx2 v[9:10], v[0:1], off
	v_mad_i64_i32 v[0:1], s[0:1], v11, 24, 0
	v_add_u32_e32 v11, v12, v11
	v_mad_i64_i32 v[0:1], s[0:1], v8, 24, v[0:1]
	v_add_co_u32_e64 v0, s[0:1], s4, v0
	v_addc_co_u32_e64 v1, s[0:1], v2, v1, s[0:1]
	v_add_co_u32_e64 v16, s[0:1], 24, v0
	v_mov_b32_e32 v0, s15
	v_addc_co_u32_e32 v0, vcc, v0, v14, vcc
	v_addc_co_u32_e64 v17, s[0:1], 0, v1, s[0:1]
	v_add_co_u32_e32 v13, vcc, 4, v15
	v_addc_co_u32_e32 v14, vcc, 0, v0, vcc
	s_mov_b64 s[0:1], 0
	v_mov_b32_e32 v0, 0
	v_mov_b32_e32 v1, 0x3fe00000
.LBB0_29:                               ; =>This Inner Loop Header: Depth=1
	global_load_dword v2, v[13:14], off
	v_add_u32_e32 v12, -1, v12
	s_waitcnt vmcnt(0)
	v_ashrrev_i32_e32 v3, 31, v2
	v_lshlrev_b64 v[2:3], 3, v[2:3]
	v_add_co_u32_e32 v2, vcc, v6, v2
	v_addc_co_u32_e32 v3, vcc, v7, v3, vcc
	global_load_dwordx2 v[18:19], v[2:3], off
	v_add_co_u32_e32 v13, vcc, 4, v13
	v_addc_co_u32_e32 v14, vcc, 0, v14, vcc
	v_cmp_eq_u32_e32 vcc, 0, v12
	s_or_b64 s[0:1], vcc, s[0:1]
	s_waitcnt vmcnt(0)
	v_add_f64 v[20:21], v[9:10], v[18:19]
	v_add_f64 v[2:3], v[9:10], -v[18:19]
	v_mov_b32_e32 v9, v18
	v_mov_b32_e32 v10, v19
	v_mul_f64 v[20:21], v[20:21], 0.5
	v_and_b32_e32 v3, 0x7fffffff, v3
	global_store_dwordx4 v[16:17], v[0:3], off
	global_store_dwordx2 v[16:17], v[20:21], off offset:16
	v_add_co_u32_e32 v16, vcc, 24, v16
	v_addc_co_u32_e32 v17, vcc, 0, v17, vcc
	s_andn2_b64 exec, exec, s[0:1]
	s_cbranch_execnz .LBB0_29
; %bb.30:
	s_or_b64 exec, exec, s[0:1]
.LBB0_31:
	s_or_b64 exec, exec, s[2:3]
	v_mov_b32_e32 v1, s7
	v_add_co_u32_e32 v0, vcc, s6, v4
	v_addc_co_u32_e32 v1, vcc, v1, v5, vcc
	v_add_u32_e32 v2, 1, v11
	global_store_dword v[0:1], v2, off
.LBB0_32:
	s_endpgm
	.section	.rodata,"a",@progbits
	.p2align	6, 0x0
	.amdhsa_kernel _Z14rainflow_countPKdPKiPdPiP15HIP_vector_typeIdLj3EES4_i
		.amdhsa_group_segment_fixed_size 0
		.amdhsa_private_segment_fixed_size 0
		.amdhsa_kernarg_size 312
		.amdhsa_user_sgpr_count 6
		.amdhsa_user_sgpr_private_segment_buffer 1
		.amdhsa_user_sgpr_dispatch_ptr 0
		.amdhsa_user_sgpr_queue_ptr 0
		.amdhsa_user_sgpr_kernarg_segment_ptr 1
		.amdhsa_user_sgpr_dispatch_id 0
		.amdhsa_user_sgpr_flat_scratch_init 0
		.amdhsa_user_sgpr_private_segment_size 0
		.amdhsa_uses_dynamic_stack 0
		.amdhsa_system_sgpr_private_segment_wavefront_offset 0
		.amdhsa_system_sgpr_workgroup_id_x 1
		.amdhsa_system_sgpr_workgroup_id_y 0
		.amdhsa_system_sgpr_workgroup_id_z 0
		.amdhsa_system_sgpr_workgroup_info 0
		.amdhsa_system_vgpr_workitem_id 0
		.amdhsa_next_free_vgpr 34
		.amdhsa_next_free_sgpr 24
		.amdhsa_reserve_vcc 1
		.amdhsa_reserve_flat_scratch 0
		.amdhsa_float_round_mode_32 0
		.amdhsa_float_round_mode_16_64 0
		.amdhsa_float_denorm_mode_32 3
		.amdhsa_float_denorm_mode_16_64 3
		.amdhsa_dx10_clamp 1
		.amdhsa_ieee_mode 1
		.amdhsa_fp16_overflow 0
		.amdhsa_exception_fp_ieee_invalid_op 0
		.amdhsa_exception_fp_denorm_src 0
		.amdhsa_exception_fp_ieee_div_zero 0
		.amdhsa_exception_fp_ieee_overflow 0
		.amdhsa_exception_fp_ieee_underflow 0
		.amdhsa_exception_fp_ieee_inexact 0
		.amdhsa_exception_int_div_zero 0
	.end_amdhsa_kernel
	.text
.Lfunc_end0:
	.size	_Z14rainflow_countPKdPKiPdPiP15HIP_vector_typeIdLj3EES4_i, .Lfunc_end0-_Z14rainflow_countPKdPKiPdPiP15HIP_vector_typeIdLj3EES4_i
                                        ; -- End function
	.set _Z14rainflow_countPKdPKiPdPiP15HIP_vector_typeIdLj3EES4_i.num_vgpr, 34
	.set _Z14rainflow_countPKdPKiPdPiP15HIP_vector_typeIdLj3EES4_i.num_agpr, 0
	.set _Z14rainflow_countPKdPKiPdPiP15HIP_vector_typeIdLj3EES4_i.numbered_sgpr, 24
	.set _Z14rainflow_countPKdPKiPdPiP15HIP_vector_typeIdLj3EES4_i.num_named_barrier, 0
	.set _Z14rainflow_countPKdPKiPdPiP15HIP_vector_typeIdLj3EES4_i.private_seg_size, 0
	.set _Z14rainflow_countPKdPKiPdPiP15HIP_vector_typeIdLj3EES4_i.uses_vcc, 1
	.set _Z14rainflow_countPKdPKiPdPiP15HIP_vector_typeIdLj3EES4_i.uses_flat_scratch, 0
	.set _Z14rainflow_countPKdPKiPdPiP15HIP_vector_typeIdLj3EES4_i.has_dyn_sized_stack, 0
	.set _Z14rainflow_countPKdPKiPdPiP15HIP_vector_typeIdLj3EES4_i.has_recursion, 0
	.set _Z14rainflow_countPKdPKiPdPiP15HIP_vector_typeIdLj3EES4_i.has_indirect_call, 0
	.section	.AMDGPU.csdata,"",@progbits
; Kernel info:
; codeLenInByte = 1548
; TotalNumSgprs: 28
; NumVgprs: 34
; ScratchSize: 0
; MemoryBound: 1
; FloatMode: 240
; IeeeMode: 1
; LDSByteSize: 0 bytes/workgroup (compile time only)
; SGPRBlocks: 3
; VGPRBlocks: 8
; NumSGPRsForWavesPerEU: 28
; NumVGPRsForWavesPerEU: 34
; Occupancy: 7
; WaveLimiterHint : 1
; COMPUTE_PGM_RSRC2:SCRATCH_EN: 0
; COMPUTE_PGM_RSRC2:USER_SGPR: 6
; COMPUTE_PGM_RSRC2:TRAP_HANDLER: 0
; COMPUTE_PGM_RSRC2:TGID_X_EN: 1
; COMPUTE_PGM_RSRC2:TGID_Y_EN: 0
; COMPUTE_PGM_RSRC2:TGID_Z_EN: 0
; COMPUTE_PGM_RSRC2:TIDIG_COMP_CNT: 0
	.section	.AMDGPU.gpr_maximums,"",@progbits
	.set amdgpu.max_num_vgpr, 0
	.set amdgpu.max_num_agpr, 0
	.set amdgpu.max_num_sgpr, 0
	.section	.AMDGPU.csdata,"",@progbits
	.type	__hip_cuid_e2c5d0758356ed1c,@object ; @__hip_cuid_e2c5d0758356ed1c
	.section	.bss,"aw",@nobits
	.globl	__hip_cuid_e2c5d0758356ed1c
__hip_cuid_e2c5d0758356ed1c:
	.byte	0                               ; 0x0
	.size	__hip_cuid_e2c5d0758356ed1c, 1

	.ident	"AMD clang version 22.0.0git (https://github.com/RadeonOpenCompute/llvm-project roc-7.2.4 26084 f58b06dce1f9c15707c5f808fd002e18c2accf7e)"
	.section	".note.GNU-stack","",@progbits
	.addrsig
	.addrsig_sym __hip_cuid_e2c5d0758356ed1c
	.amdgpu_metadata
---
amdhsa.kernels:
  - .args:
      - .actual_access:  read_only
        .address_space:  global
        .offset:         0
        .size:           8
        .value_kind:     global_buffer
      - .actual_access:  read_only
        .address_space:  global
        .offset:         8
        .size:           8
        .value_kind:     global_buffer
      - .address_space:  global
        .offset:         16
        .size:           8
        .value_kind:     global_buffer
      - .address_space:  global
        .offset:         24
        .size:           8
        .value_kind:     global_buffer
      - .actual_access:  write_only
        .address_space:  global
        .offset:         32
        .size:           8
        .value_kind:     global_buffer
      - .actual_access:  write_only
        .address_space:  global
        .offset:         40
        .size:           8
        .value_kind:     global_buffer
      - .offset:         48
        .size:           4
        .value_kind:     by_value
      - .offset:         56
        .size:           4
        .value_kind:     hidden_block_count_x
      - .offset:         60
        .size:           4
        .value_kind:     hidden_block_count_y
      - .offset:         64
        .size:           4
        .value_kind:     hidden_block_count_z
      - .offset:         68
        .size:           2
        .value_kind:     hidden_group_size_x
      - .offset:         70
        .size:           2
        .value_kind:     hidden_group_size_y
      - .offset:         72
        .size:           2
        .value_kind:     hidden_group_size_z
      - .offset:         74
        .size:           2
        .value_kind:     hidden_remainder_x
      - .offset:         76
        .size:           2
        .value_kind:     hidden_remainder_y
      - .offset:         78
        .size:           2
        .value_kind:     hidden_remainder_z
      - .offset:         96
        .size:           8
        .value_kind:     hidden_global_offset_x
      - .offset:         104
        .size:           8
        .value_kind:     hidden_global_offset_y
      - .offset:         112
        .size:           8
        .value_kind:     hidden_global_offset_z
      - .offset:         120
        .size:           2
        .value_kind:     hidden_grid_dims
    .group_segment_fixed_size: 0
    .kernarg_segment_align: 8
    .kernarg_segment_size: 312
    .language:       OpenCL C
    .language_version:
      - 2
      - 0
    .max_flat_workgroup_size: 1024
    .name:           _Z14rainflow_countPKdPKiPdPiP15HIP_vector_typeIdLj3EES4_i
    .private_segment_fixed_size: 0
    .sgpr_count:     28
    .sgpr_spill_count: 0
    .symbol:         _Z14rainflow_countPKdPKiPdPiP15HIP_vector_typeIdLj3EES4_i.kd
    .uniform_work_group_size: 1
    .uses_dynamic_stack: false
    .vgpr_count:     34
    .vgpr_spill_count: 0
    .wavefront_size: 64
amdhsa.target:   amdgcn-amd-amdhsa--gfx906
amdhsa.version:
  - 1
  - 2
...

	.end_amdgpu_metadata
